;; amdgpu-corpus repo=ROCm/rocFFT kind=compiled arch=gfx906 opt=O3
	.text
	.amdgcn_target "amdgcn-amd-amdhsa--gfx906"
	.amdhsa_code_object_version 6
	.protected	fft_rtc_fwd_len240_factors_2_2_10_3_2_wgs_180_tpt_20_dim3_sp_ip_CI_sbcc_twdbase8_2step_dirReg_intrinsicReadWrite ; -- Begin function fft_rtc_fwd_len240_factors_2_2_10_3_2_wgs_180_tpt_20_dim3_sp_ip_CI_sbcc_twdbase8_2step_dirReg_intrinsicReadWrite
	.globl	fft_rtc_fwd_len240_factors_2_2_10_3_2_wgs_180_tpt_20_dim3_sp_ip_CI_sbcc_twdbase8_2step_dirReg_intrinsicReadWrite
	.p2align	8
	.type	fft_rtc_fwd_len240_factors_2_2_10_3_2_wgs_180_tpt_20_dim3_sp_ip_CI_sbcc_twdbase8_2step_dirReg_intrinsicReadWrite,@function
fft_rtc_fwd_len240_factors_2_2_10_3_2_wgs_180_tpt_20_dim3_sp_ip_CI_sbcc_twdbase8_2step_dirReg_intrinsicReadWrite: ; @fft_rtc_fwd_len240_factors_2_2_10_3_2_wgs_180_tpt_20_dim3_sp_ip_CI_sbcc_twdbase8_2step_dirReg_intrinsicReadWrite
; %bb.0:
	s_load_dwordx4 s[0:3], s[4:5], 0x10
	s_mov_b32 s7, 0
	s_mov_b64 s[20:21], 0
	s_waitcnt lgkmcnt(0)
	s_load_dwordx2 s[10:11], s[0:1], 0x8
	s_waitcnt lgkmcnt(0)
	s_add_u32 s8, s10, -1
	s_addc_u32 s9, s11, -1
	s_add_u32 s12, 0, 0x71c4fc00
	s_addc_u32 s13, 0, 0x7c
	s_mul_hi_u32 s15, s12, -9
	s_add_i32 s13, s13, 0x1c71c6a0
	s_sub_i32 s15, s15, s12
	s_mul_i32 s18, s13, -9
	s_mul_i32 s14, s12, -9
	s_add_i32 s15, s15, s18
	s_mul_hi_u32 s16, s13, s14
	s_mul_i32 s17, s13, s14
	s_mul_i32 s19, s12, s15
	s_mul_hi_u32 s14, s12, s14
	s_mul_hi_u32 s18, s12, s15
	s_add_u32 s14, s14, s19
	s_addc_u32 s18, 0, s18
	s_add_u32 s14, s14, s17
	s_mul_hi_u32 s19, s13, s15
	s_addc_u32 s14, s18, s16
	s_addc_u32 s16, s19, 0
	s_mul_i32 s15, s13, s15
	s_add_u32 s14, s14, s15
	v_mov_b32_e32 v1, s14
	s_addc_u32 s15, 0, s16
	v_add_co_u32_e32 v1, vcc, s12, v1
	s_cmp_lg_u64 vcc, 0
	s_addc_u32 s12, s13, s15
	v_readfirstlane_b32 s15, v1
	s_mul_i32 s14, s8, s12
	s_mul_hi_u32 s16, s8, s15
	s_mul_hi_u32 s13, s8, s12
	s_add_u32 s14, s16, s14
	s_addc_u32 s13, 0, s13
	s_mul_hi_u32 s17, s9, s15
	s_mul_i32 s15, s9, s15
	s_add_u32 s14, s14, s15
	s_mul_hi_u32 s16, s9, s12
	s_addc_u32 s13, s13, s17
	s_addc_u32 s14, s16, 0
	s_mul_i32 s12, s9, s12
	s_add_u32 s12, s13, s12
	s_addc_u32 s13, 0, s14
	s_add_u32 s14, s12, 1
	s_addc_u32 s15, s13, 0
	s_add_u32 s16, s12, 2
	s_mul_i32 s18, s13, 9
	s_mul_hi_u32 s19, s12, 9
	s_addc_u32 s17, s13, 0
	s_add_i32 s19, s19, s18
	s_mul_i32 s18, s12, 9
	v_mov_b32_e32 v1, s18
	v_sub_co_u32_e32 v1, vcc, s8, v1
	s_cmp_lg_u64 vcc, 0
	s_subb_u32 s8, s9, s19
	v_subrev_co_u32_e32 v2, vcc, 9, v1
	s_cmp_lg_u64 vcc, 0
	s_subb_u32 s9, s8, 0
	v_readfirstlane_b32 s18, v2
	s_cmp_gt_u32 s18, 8
	s_cselect_b32 s18, -1, 0
	s_cmp_eq_u32 s9, 0
	s_cselect_b32 s9, s18, -1
	s_cmp_lg_u32 s9, 0
	s_cselect_b32 s9, s16, s14
	s_cselect_b32 s14, s17, s15
	v_readfirstlane_b32 s15, v1
	s_cmp_gt_u32 s15, 8
	s_cselect_b32 s15, -1, 0
	s_cmp_eq_u32 s8, 0
	s_cselect_b32 s8, s15, -1
	s_cmp_lg_u32 s8, 0
	s_cselect_b32 s9, s9, s12
	s_cselect_b32 s8, s14, s13
	s_add_u32 s18, s9, 1
	s_addc_u32 s19, s8, 0
	v_mov_b32_e32 v1, s18
	v_mov_b32_e32 v2, s19
	v_cmp_lt_u64_e32 vcc, s[6:7], v[1:2]
	s_cbranch_vccnz .LBB0_2
; %bb.1:
	v_cvt_f32_u32_e32 v1, s18
	s_sub_i32 s8, 0, s18
	s_mov_b32 s21, s7
	v_rcp_iflag_f32_e32 v1, v1
	v_mul_f32_e32 v1, 0x4f7ffffe, v1
	v_cvt_u32_f32_e32 v1, v1
	v_readfirstlane_b32 s9, v1
	s_mul_i32 s8, s8, s9
	s_mul_hi_u32 s8, s9, s8
	s_add_i32 s9, s9, s8
	s_mul_hi_u32 s8, s6, s9
	s_mul_i32 s12, s8, s18
	s_sub_i32 s12, s6, s12
	s_add_i32 s9, s8, 1
	s_sub_i32 s13, s12, s18
	s_cmp_ge_u32 s12, s18
	s_cselect_b32 s8, s9, s8
	s_cselect_b32 s12, s13, s12
	s_add_i32 s9, s8, 1
	s_cmp_ge_u32 s12, s18
	s_cselect_b32 s20, s9, s8
.LBB0_2:
	s_load_dwordx2 s[22:23], s[0:1], 0x10
	s_load_dwordx2 s[8:9], s[4:5], 0x50
	;; [unrolled: 1-line block ×3, first 2 shown]
	s_load_dwordx4 s[12:15], s[2:3], 0x0
	s_mov_b64 s[0:1], s[20:21]
	s_waitcnt lgkmcnt(0)
	v_mov_b32_e32 v1, s22
	v_mov_b32_e32 v2, s23
	v_cmp_lt_u64_e32 vcc, s[20:21], v[1:2]
	s_cbranch_vccnz .LBB0_4
; %bb.3:
	v_cvt_f32_u32_e32 v1, s22
	s_sub_i32 s0, 0, s22
	v_rcp_iflag_f32_e32 v1, v1
	v_mul_f32_e32 v1, 0x4f7ffffe, v1
	v_cvt_u32_f32_e32 v1, v1
	v_readfirstlane_b32 s1, v1
	s_mul_i32 s0, s0, s1
	s_mul_hi_u32 s0, s1, s0
	s_add_i32 s1, s1, s0
	s_mul_hi_u32 s0, s20, s1
	s_mul_i32 s0, s0, s22
	s_sub_i32 s0, s20, s0
	s_sub_i32 s1, s0, s22
	s_cmp_ge_u32 s0, s22
	s_cselect_b32 s0, s1, s0
	s_sub_i32 s1, s0, s22
	s_cmp_ge_u32 s0, s22
	s_cselect_b32 s0, s1, s0
.LBB0_4:
	s_mul_i32 s1, s22, s19
	s_mul_hi_u32 s13, s22, s18
	s_add_i32 s1, s13, s1
	s_mul_i32 s13, s23, s18
	s_mul_i32 s24, s22, s18
	s_add_i32 s25, s1, s13
	s_load_dwordx2 s[22:23], s[2:3], 0x10
	v_mov_b32_e32 v1, s24
	v_mov_b32_e32 v2, s25
	v_cmp_lt_u64_e32 vcc, s[6:7], v[1:2]
	s_mov_b64 s[26:27], 0
	s_cbranch_vccnz .LBB0_6
; %bb.5:
	v_cvt_f32_u32_e32 v1, s24
	s_sub_i32 s1, 0, s24
	v_rcp_iflag_f32_e32 v1, v1
	v_mul_f32_e32 v1, 0x4f7ffffe, v1
	v_cvt_u32_f32_e32 v1, v1
	v_readfirstlane_b32 s7, v1
	s_mul_i32 s1, s1, s7
	s_mul_hi_u32 s1, s7, s1
	s_add_i32 s7, s7, s1
	s_mul_hi_u32 s1, s6, s7
	s_mul_i32 s13, s1, s24
	s_sub_i32 s13, s6, s13
	s_add_i32 s7, s1, 1
	s_sub_i32 s15, s13, s24
	s_cmp_ge_u32 s13, s24
	s_cselect_b32 s1, s7, s1
	s_cselect_b32 s13, s15, s13
	s_add_i32 s7, s1, 1
	s_cmp_ge_u32 s13, s24
	s_cselect_b32 s26, s7, s1
.LBB0_6:
	s_mul_i32 s1, s20, s19
	s_mul_hi_u32 s7, s20, s18
	s_load_dword s2, s[2:3], 0x18
	s_add_i32 s7, s7, s1
	s_mul_i32 s1, s20, s18
	s_sub_u32 s1, s6, s1
	v_mul_u32_u24_e32 v25, 0x1c72, v0
	s_subb_u32 s6, 0, s7
	s_mul_hi_u32 s7, s1, 9
	s_mul_i32 s1, s1, 9
	v_lshrrev_b32_e32 v68, 16, v25
	s_mul_i32 s6, s6, 9
	s_mul_i32 s3, s14, s1
	s_waitcnt lgkmcnt(0)
	s_mul_i32 s0, s22, s0
	v_mul_lo_u16_e32 v1, 9, v68
	s_add_i32 s6, s7, s6
	s_add_i32 s0, s0, s3
	s_mul_i32 s2, s2, s26
	v_sub_u16_e32 v26, v0, v1
	s_add_i32 s7, s2, s0
	v_mov_b32_e32 v1, s6
	v_add_co_u32_e32 v55, vcc, s1, v26
	v_addc_co_u32_e32 v56, vcc, 0, v1, vcc
	s_add_u32 s0, s1, 9
	v_mad_u64_u32 v[53:54], s[2:3], s14, v26, 0
	v_mul_lo_u32 v3, s12, v68
	v_mov_b32_e32 v1, s10
	s_addc_u32 s1, s6, 0
	v_mov_b32_e32 v2, s11
	v_cmp_le_u64_e32 vcc, s[0:1], v[1:2]
	v_cmp_gt_u64_e64 s[0:1], s[10:11], v[55:56]
	v_add_lshl_u32 v1, v53, v3, 3
	s_or_b64 vcc, vcc, s[0:1]
	v_add_u32_e32 v63, 20, v68
	v_cndmask_b32_e32 v54, -1, v1, vcc
	v_mul_lo_u32 v1, s12, v63
	v_add_u32_e32 v2, 0x8c, v68
	v_mul_lo_u32 v2, s12, v2
	v_add_u32_e32 v62, 40, v68
	v_add_lshl_u32 v1, v53, v1, 3
	v_cndmask_b32_e32 v7, -1, v1, vcc
	v_add_lshl_u32 v1, v53, v2, 3
	v_or_b32_e32 v2, 0xa0, v68
	v_mul_lo_u32 v3, s12, v62
	v_mul_lo_u32 v4, s12, v2
	s_lshl_b32 s6, s7, 3
	s_mov_b32 s11, 0x20000
	v_add_lshl_u32 v3, v53, v3, 3
	s_mov_b32 s10, -2
	v_cndmask_b32_e32 v1, -1, v1, vcc
	v_add_lshl_u32 v4, v53, v4, 3
	v_cndmask_b32_e32 v8, -1, v3, vcc
	buffer_load_dwordx2 v[1:2], v1, s[8:11], s6 offen
	v_cndmask_b32_e32 v9, -1, v4, vcc
	v_add_u32_e32 v64, 60, v68
	buffer_load_dwordx2 v[3:4], v8, s[8:11], s6 offen
	buffer_load_dwordx2 v[5:6], v9, s[8:11], s6 offen
	v_add_u32_e32 v8, 0xb4, v68
	v_mul_lo_u32 v10, s12, v64
	v_mul_lo_u32 v9, s12, v8
	v_add_u32_e32 v69, 0x78, v68
	v_mul_lo_u32 v11, s12, v69
	v_add_u32_e32 v66, 0x50, v68
	;; [unrolled: 2-line block ×3, first 2 shown]
	buffer_load_dwordx2 v[7:8], v7, s[8:11], s6 offen
	v_mul_lo_u32 v20, s12, v13
	v_add_lshl_u32 v10, v53, v10, 3
	v_add_lshl_u32 v9, v53, v9, 3
	v_cndmask_b32_e32 v17, -1, v10, vcc
	v_cndmask_b32_e32 v18, -1, v9, vcc
	v_add_lshl_u32 v9, v53, v11, 3
	v_cndmask_b32_e32 v67, -1, v9, vcc
	buffer_load_dwordx2 v[9:10], v54, s[8:11], s6 offen
	buffer_load_dwordx2 v[11:12], v67, s[8:11], s6 offen
	;; [unrolled: 1-line block ×4, first 2 shown]
	v_add_lshl_u32 v17, v53, v19, 3
	v_cndmask_b32_e32 v21, -1, v17, vcc
	v_add_lshl_u32 v17, v53, v20, 3
	v_add_u32_e32 v65, 0x64, v68
	v_cndmask_b32_e32 v22, -1, v17, vcc
	v_add_u32_e32 v17, 0xdc, v68
	v_mul_lo_u32 v24, s12, v65
	v_mul_lo_u32 v23, s12, v17
	buffer_load_dwordx2 v[17:18], v21, s[8:11], s6 offen
	buffer_load_dwordx2 v[19:20], v22, s[8:11], s6 offen
	v_lshlrev_b32_e32 v72, 3, v26
	v_add_lshl_u32 v21, v53, v24, 3
	v_cndmask_b32_e32 v27, -1, v21, vcc
	v_add_lshl_u32 v21, v53, v23, 3
	v_cndmask_b32_e32 v28, -1, v21, vcc
	buffer_load_dwordx2 v[21:22], v27, s[8:11], s6 offen
	buffer_load_dwordx2 v[23:24], v28, s[8:11], s6 offen
	v_mul_u32_u24_e32 v27, 0x90, v68
	v_add3_u32 v26, 0, v27, v72
	v_add_u32_e32 v27, 0x800, v26
	s_movk_i32 s0, 0x7c
                                        ; implicit-def: $vgpr59
	s_waitcnt vmcnt(8)
	v_sub_f32_e32 v1, v7, v1
	v_sub_f32_e32 v2, v8, v2
	v_fma_f32 v7, v7, 2.0, -v1
	v_fma_f32 v8, v8, 2.0, -v2
	ds_write2_b64 v27, v[7:8], v[1:2] offset0:104 offset1:113
	v_sub_f32_e32 v1, v3, v5
	v_sub_f32_e32 v2, v4, v6
	v_fma_f32 v3, v3, 2.0, -v1
	v_fma_f32 v4, v4, 2.0, -v2
	v_add_u32_e32 v5, 0x1000, v26
	ds_write2_b64 v5, v[3:4], v[1:2] offset0:208 offset1:217
	s_waitcnt vmcnt(6)
	v_sub_f32_e32 v1, v9, v11
	v_sub_f32_e32 v2, v10, v12
	v_fma_f32 v3, v9, 2.0, -v1
	v_fma_f32 v4, v10, 2.0, -v2
	ds_write2_b64 v26, v[3:4], v[1:2] offset1:9
	s_waitcnt vmcnt(4)
	v_sub_f32_e32 v3, v13, v15
	v_sub_f32_e32 v4, v14, v16
	v_fma_f32 v1, v13, 2.0, -v3
	v_fma_f32 v2, v14, 2.0, -v4
	ds_write_b64 v26, v[1:2] offset:8640
	v_add_u32_e32 v1, 0x2000, v26
	ds_write2_b32 v1, v3, v4 offset0:130 offset1:131
	s_waitcnt vmcnt(2)
	v_sub_f32_e32 v1, v17, v19
	v_sub_f32_e32 v2, v18, v20
	v_fma_f32 v3, v17, 2.0, -v1
	v_fma_f32 v4, v18, 2.0, -v2
	v_add_u32_e32 v5, 0x2c00, v26
	ds_write2_b32 v5, v3, v4 offset0:64 offset1:65
	ds_write2_b32 v5, v1, v2 offset0:82 offset1:83
	s_waitcnt vmcnt(0)
	v_sub_f32_e32 v1, v21, v23
	v_sub_f32_e32 v2, v22, v24
	v_fma_f32 v3, v21, 2.0, -v1
	v_fma_f32 v4, v22, 2.0, -v2
	v_add_u32_e32 v5, 0x3800, v26
	v_bfe_u32 v19, v25, 16, 1
	ds_write2_b32 v5, v3, v4 offset0:16 offset1:17
	ds_write2_b32 v5, v1, v2 offset0:34 offset1:35
	v_lshlrev_b32_e32 v1, 3, v19
	s_waitcnt lgkmcnt(0)
	s_barrier
	global_load_dwordx2 v[13:14], v1, s[16:17]
	v_mul_u32_u24_e32 v1, 9, v68
	v_lshlrev_b32_e32 v1, 3, v1
	v_add3_u32 v70, 0, v1, v72
	v_mul_u32_u24_e32 v2, 0x48, v63
	v_add_u32_e32 v1, 0x2000, v70
	v_add_u32_e32 v5, 0x2c00, v70
	;; [unrolled: 1-line block ×3, first 2 shown]
	v_add3_u32 v71, 0, v2, v72
	ds_read2_b64 v[1:4], v1 offset0:56 offset1:236
	ds_read2_b64 v[5:8], v5 offset0:32 offset1:212
	;; [unrolled: 1-line block ×3, first 2 shown]
	ds_read_b64 v[15:16], v71 offset:5760
	ds_read_b32 v20, v71 offset:5764
	ds_read_b32 v21, v71 offset:5760
	ds_read_b64 v[17:18], v70
	s_waitcnt vmcnt(0) lgkmcnt(6)
	v_mul_f32_e32 v23, v14, v1
	v_mul_f32_e32 v22, v14, v2
	;; [unrolled: 1-line block ×4, first 2 shown]
	s_waitcnt lgkmcnt(5)
	v_mul_f32_e32 v27, v14, v6
	v_mul_f32_e32 v28, v14, v5
	;; [unrolled: 1-line block ×4, first 2 shown]
	s_waitcnt lgkmcnt(4)
	v_mul_f32_e32 v31, v14, v10
	v_mul_f32_e32 v32, v14, v9
	v_fmac_f32_e32 v23, v13, v2
	v_mul_f32_e32 v2, v14, v12
	v_fma_f32 v1, v13, v1, -v22
	v_fma_f32 v22, v13, v3, -v24
	v_fmac_f32_e32 v26, v13, v4
	v_fma_f32 v24, v13, v5, -v27
	v_fmac_f32_e32 v28, v13, v6
	v_fma_f32 v27, v13, v7, -v29
	v_fmac_f32_e32 v30, v13, v8
	v_fma_f32 v29, v13, v9, -v31
	v_fmac_f32_e32 v32, v13, v10
	v_fma_f32 v31, v13, v11, -v2
	v_mul_f32_e32 v13, v13, v12
	v_fmac_f32_e32 v13, v14, v11
	s_waitcnt lgkmcnt(0)
	v_sub_f32_e32 v9, v17, v1
	v_add_u32_e32 v1, 0xa00, v71
	v_lshrrev_b32_e32 v14, 15, v25
	ds_read2_b64 v[1:4], v1 offset0:40 offset1:220
	ds_read2_b64 v[5:8], v71 offset1:180
	v_and_or_b32 v14, v14, 60, v19
	v_sub_f32_e32 v10, v18, v23
	v_mul_u32_u24_e32 v14, 0x48, v14
	v_fma_f32 v11, v17, 2.0, -v9
	v_fma_f32 v12, v18, 2.0, -v10
	v_add3_u32 v14, 0, v14, v72
	s_waitcnt lgkmcnt(0)
	s_barrier
	ds_write2_b64 v14, v[11:12], v[9:10] offset1:18
	v_lshlrev_b32_e32 v11, 1, v63
	v_and_or_b32 v11, v11, s0, v19
	v_sub_f32_e32 v9, v5, v22
	v_sub_f32_e32 v10, v6, v26
	v_mul_u32_u24_e32 v11, 0x48, v11
	v_fma_f32 v5, v5, 2.0, -v9
	v_fma_f32 v6, v6, 2.0, -v10
	v_add3_u32 v11, 0, v11, v72
	ds_write2_b64 v11, v[5:6], v[9:10] offset1:18
	s_movk_i32 s0, 0xfc
	v_lshlrev_b32_e32 v9, 1, v62
	v_and_or_b32 v9, v9, s0, v19
	v_sub_f32_e32 v5, v7, v24
	v_sub_f32_e32 v6, v8, v28
	v_mul_u32_u24_e32 v9, 0x48, v9
	v_fma_f32 v7, v7, 2.0, -v5
	v_fma_f32 v8, v8, 2.0, -v6
	v_add3_u32 v9, 0, v9, v72
	ds_write2_b64 v9, v[7:8], v[5:6] offset1:18
	v_lshlrev_b32_e32 v7, 1, v64
	v_and_or_b32 v7, v7, s0, v19
	v_sub_f32_e32 v5, v1, v27
	v_sub_f32_e32 v6, v2, v30
	v_mul_u32_u24_e32 v7, 0x48, v7
	v_fma_f32 v1, v1, 2.0, -v5
	v_fma_f32 v2, v2, 2.0, -v6
	v_add3_u32 v7, 0, v7, v72
	ds_write2_b64 v7, v[1:2], v[5:6] offset1:18
	;; [unrolled: 9-line block ×3, first 2 shown]
	s_movk_i32 s0, 0x1fc
	v_lshlrev_b32_e32 v3, 1, v65
	v_and_or_b32 v3, v3, s0, v19
	v_sub_f32_e32 v1, v15, v31
	v_sub_f32_e32 v2, v16, v13
	v_mul_u32_u24_e32 v3, 0x48, v3
	v_fma_f32 v56, v21, 2.0, -v1
	v_fma_f32 v57, v20, 2.0, -v2
	v_add3_u32 v3, 0, v3, v72
	ds_write2_b64 v3, v[56:57], v[1:2] offset1:18
	v_add_u32_e32 v3, 0xd00, v70
	s_waitcnt lgkmcnt(0)
	s_barrier
	v_add_u32_e32 v4, 0x1a00, v70
	v_add_u32_e32 v5, 0x2800, v70
	v_add_u32_e32 v6, 0x3600, v70
	ds_read2_b64 v[49:52], v3 offset0:16 offset1:232
	ds_read2_b64 v[45:48], v4 offset0:32 offset1:248
	;; [unrolled: 1-line block ×3, first 2 shown]
	ds_read2_b64 v[37:40], v6 offset1:216
	ds_read2_b64 v[33:36], v70 offset1:216
	v_cmp_gt_u32_e64 s[0:1], 36, v0
                                        ; implicit-def: $vgpr12
                                        ; implicit-def: $vgpr8
                                        ; implicit-def: $vgpr16
	s_and_saveexec_b64 s[2:3], s[0:1]
	s_cbranch_execz .LBB0_8
; %bb.7:
	v_add_u32_e32 v5, 0x1900, v70
	v_add_u32_e32 v1, 0xc00, v70
	ds_read2_b64 v[13:16], v5 offset0:28 offset1:244
	v_add_u32_e32 v5, 0x2700, v70
	v_add_u32_e32 v9, 0x3400, v70
	ds_read2_b64 v[1:4], v1 offset0:12 offset1:228
	ds_read2_b64 v[5:8], v5 offset0:12 offset1:228
	;; [unrolled: 1-line block ×3, first 2 shown]
	ds_read_b64 v[56:57], v71
	ds_read_b64 v[58:59], v70 offset:16992
.LBB0_8:
	s_or_b64 exec, exec, s[2:3]
	v_and_b32_e32 v77, 3, v68
	v_mul_u32_u24_e32 v17, 9, v77
	v_lshlrev_b32_e32 v73, 3, v17
	global_load_dwordx4 v[17:20], v73, s[16:17] offset:16
	global_load_dwordx4 v[29:32], v73, s[16:17] offset:32
	;; [unrolled: 1-line block ×4, first 2 shown]
	global_load_dwordx2 v[60:61], v73, s[16:17] offset:80
	s_mov_b32 s7, 0x3f737871
	s_mov_b32 s10, 0x3f167918
	;; [unrolled: 1-line block ×4, first 2 shown]
	v_add_u32_e32 v75, 0x5a0, v71
	v_add_u32_e32 v76, 0xb40, v71
	;; [unrolled: 1-line block ×4, first 2 shown]
	s_waitcnt vmcnt(0) lgkmcnt(0)
	s_barrier
	v_mul_f32_e32 v78, v18, v36
	v_mul_f32_e32 v80, v20, v50
	;; [unrolled: 1-line block ×14, first 2 shown]
	v_fma_f32 v49, v19, v49, -v80
	v_fmac_f32_e32 v81, v19, v50
	v_fma_f32 v50, v29, v51, -v82
	v_fma_f32 v51, v17, v35, -v78
	;; [unrolled: 1-line block ×5, first 2 shown]
	v_mul_f32_e32 v87, v26, v47
	v_mul_f32_e32 v94, v40, v61
	v_fmac_f32_e32 v79, v17, v36
	v_fmac_f32_e32 v85, v31, v46
	v_fma_f32 v36, v25, v47, -v86
	v_fmac_f32_e32 v95, v40, v60
	v_add_f32_e32 v40, v35, v41
	v_sub_f32_e32 v45, v49, v35
	v_sub_f32_e32 v46, v37, v41
	v_add_f32_e32 v47, v49, v37
	v_mul_f32_e32 v91, v22, v43
	v_fmac_f32_e32 v83, v29, v52
	v_fmac_f32_e32 v87, v25, v48
	;; [unrolled: 1-line block ×3, first 2 shown]
	v_sub_f32_e32 v48, v35, v49
	v_sub_f32_e32 v52, v41, v37
	v_fma_f32 v82, -0.5, v40, v33
	v_add_f32_e32 v40, v45, v46
	v_fma_f32 v46, -0.5, v47, v33
	v_mul_f32_e32 v90, v22, v44
	v_fmac_f32_e32 v91, v21, v44
	v_fmac_f32_e32 v93, v23, v38
	v_fma_f32 v38, v39, v60, -v94
	v_add_f32_e32 v39, v33, v49
	v_sub_f32_e32 v44, v85, v89
	v_add_f32_e32 v80, v85, v89
	v_add_f32_e32 v33, v48, v52
	v_mov_b32_e32 v48, v46
	v_fma_f32 v42, v21, v43, -v90
	v_sub_f32_e32 v43, v81, v93
	v_add_f32_e32 v78, v34, v81
	v_add_f32_e32 v39, v39, v35
	v_fma_f32 v52, -0.5, v80, v34
	v_fmac_f32_e32 v46, 0x3f737871, v44
	v_fmac_f32_e32 v48, 0xbf737871, v44
	v_sub_f32_e32 v49, v49, v37
	v_add_f32_e32 v45, v78, v85
	v_add_f32_e32 v39, v39, v41
	v_mov_b32_e32 v78, v52
	v_fmac_f32_e32 v46, 0xbf167918, v43
	v_fmac_f32_e32 v48, 0x3f167918, v43
	v_add_f32_e32 v80, v39, v37
	v_fmac_f32_e32 v78, 0xbf737871, v49
	v_fmac_f32_e32 v46, 0x3e9e377a, v33
	;; [unrolled: 1-line block ×3, first 2 shown]
	v_sub_f32_e32 v33, v35, v41
	v_sub_f32_e32 v35, v81, v85
	;; [unrolled: 1-line block ×3, first 2 shown]
	v_fmac_f32_e32 v52, 0x3f737871, v49
	v_fmac_f32_e32 v78, 0xbf167918, v33
	v_add_f32_e32 v35, v35, v37
	v_fmac_f32_e32 v52, 0x3f167918, v33
	v_fmac_f32_e32 v78, 0x3e9e377a, v35
	;; [unrolled: 1-line block ×3, first 2 shown]
	v_add_f32_e32 v35, v81, v93
	v_fma_f32 v86, -0.5, v35, v34
	v_mov_b32_e32 v88, v86
	v_fmac_f32_e32 v88, 0x3f737871, v33
	v_fmac_f32_e32 v86, 0xbf737871, v33
	v_add_f32_e32 v33, v51, v50
	v_add_f32_e32 v33, v33, v36
	v_mov_b32_e32 v47, v82
	v_add_f32_e32 v33, v33, v42
	v_fmac_f32_e32 v82, 0xbf737871, v43
	v_fmac_f32_e32 v47, 0x3f737871, v43
	v_add_f32_e32 v43, v33, v38
	v_add_f32_e32 v33, v36, v42
	v_fmac_f32_e32 v82, 0xbf167918, v44
	v_fmac_f32_e32 v47, 0x3f167918, v44
	v_sub_f32_e32 v34, v85, v81
	v_sub_f32_e32 v35, v89, v93
	v_fma_f32 v44, -0.5, v33, v51
	v_fmac_f32_e32 v82, 0x3e9e377a, v40
	v_fmac_f32_e32 v47, 0x3e9e377a, v40
	;; [unrolled: 1-line block ×3, first 2 shown]
	v_add_f32_e32 v34, v34, v35
	v_fmac_f32_e32 v86, 0x3f167918, v49
	v_sub_f32_e32 v33, v83, v95
	v_mov_b32_e32 v40, v44
	v_fmac_f32_e32 v88, 0x3e9e377a, v34
	v_fmac_f32_e32 v86, 0x3e9e377a, v34
	;; [unrolled: 1-line block ×3, first 2 shown]
	v_sub_f32_e32 v34, v87, v91
	v_sub_f32_e32 v35, v50, v36
	;; [unrolled: 1-line block ×3, first 2 shown]
	v_fmac_f32_e32 v44, 0xbf737871, v33
	v_fmac_f32_e32 v40, 0x3f167918, v34
	v_add_f32_e32 v35, v35, v37
	v_fmac_f32_e32 v44, 0xbf167918, v34
	v_fmac_f32_e32 v40, 0x3e9e377a, v35
	;; [unrolled: 1-line block ×3, first 2 shown]
	v_add_f32_e32 v35, v50, v38
	v_add_f32_e32 v45, v45, v89
	v_fmac_f32_e32 v51, -0.5, v35
	v_add_f32_e32 v84, v45, v93
	v_mov_b32_e32 v45, v51
	v_fmac_f32_e32 v45, 0xbf737871, v34
	v_fmac_f32_e32 v51, 0x3f737871, v34
	;; [unrolled: 1-line block ×4, first 2 shown]
	v_add_f32_e32 v33, v79, v83
	v_add_f32_e32 v33, v33, v87
	;; [unrolled: 1-line block ×5, first 2 shown]
	v_sub_f32_e32 v35, v36, v50
	v_sub_f32_e32 v37, v42, v38
	v_fma_f32 v49, -0.5, v33, v79
	v_add_f32_e32 v35, v35, v37
	v_sub_f32_e32 v33, v50, v38
	v_mov_b32_e32 v38, v49
	v_fmac_f32_e32 v45, 0x3e9e377a, v35
	v_fmac_f32_e32 v51, 0x3e9e377a, v35
	;; [unrolled: 1-line block ×3, first 2 shown]
	v_sub_f32_e32 v34, v36, v42
	v_sub_f32_e32 v35, v83, v87
	;; [unrolled: 1-line block ×3, first 2 shown]
	v_fmac_f32_e32 v49, 0x3f737871, v33
	v_fmac_f32_e32 v38, 0xbf167918, v34
	v_add_f32_e32 v35, v35, v36
	v_fmac_f32_e32 v49, 0x3f167918, v34
	v_fmac_f32_e32 v38, 0x3e9e377a, v35
	;; [unrolled: 1-line block ×3, first 2 shown]
	v_add_f32_e32 v35, v83, v95
	v_fmac_f32_e32 v79, -0.5, v35
	v_mov_b32_e32 v42, v79
	v_sub_f32_e32 v35, v87, v83
	v_sub_f32_e32 v36, v91, v95
	v_fmac_f32_e32 v79, 0xbf737871, v34
	v_fmac_f32_e32 v42, 0x3f737871, v34
	v_add_f32_e32 v35, v35, v36
	v_fmac_f32_e32 v79, 0x3f167918, v33
	v_fmac_f32_e32 v42, 0xbf167918, v33
	;; [unrolled: 1-line block ×3, first 2 shown]
	v_mul_f32_e32 v34, 0x3e9e377a, v51
	v_mul_f32_e32 v89, 0xbf167918, v40
	v_fmac_f32_e32 v42, 0x3e9e377a, v35
	v_fma_f32 v85, v79, s7, -v34
	v_mul_f32_e32 v34, 0x3f4f1bbd, v44
	v_fmac_f32_e32 v89, 0x3f4f1bbd, v38
	v_mul_f32_e32 v90, 0xbf737871, v45
	v_mul_f32_e32 v83, 0x3f737871, v42
	v_add_f32_e32 v39, v46, v85
	v_fma_f32 v87, v49, s10, -v34
	v_add_f32_e32 v36, v78, v89
	v_fmac_f32_e32 v90, 0x3e9e377a, v42
	v_mul_f32_e32 v42, 0x3f4f1bbd, v49
	v_sub_f32_e32 v49, v46, v85
	v_sub_f32_e32 v46, v78, v89
	v_lshrrev_b32_e32 v78, 2, v68
	v_mul_u32_u24_e32 v78, 40, v78
	v_mul_f32_e32 v50, 0x3f167918, v38
	v_or_b32_e32 v77, v78, v77
	v_fmac_f32_e32 v50, 0x3f4f1bbd, v40
	v_mul_f32_e32 v40, 0x3e9e377a, v79
	v_mul_u32_u24_e32 v77, 0x48, v77
	v_add_f32_e32 v33, v80, v43
	v_add_f32_e32 v35, v47, v50
	v_fmac_f32_e32 v83, 0x3e9e377a, v45
	v_add_f32_e32 v34, v84, v81
	v_fma_f32 v79, v51, s11, -v40
	v_fma_f32 v91, v44, s13, -v42
	v_add3_u32 v77, 0, v77, v72
	v_add_f32_e32 v37, v48, v83
	v_add_f32_e32 v41, v82, v87
	;; [unrolled: 1-line block ×5, first 2 shown]
	v_sub_f32_e32 v43, v80, v43
	v_sub_f32_e32 v45, v47, v50
	;; [unrolled: 1-line block ×8, first 2 shown]
	ds_write2_b64 v77, v[33:34], v[35:36] offset1:36
	ds_write2_b64 v77, v[37:38], v[39:40] offset0:72 offset1:108
	ds_write2_b64 v77, v[41:42], v[43:44] offset0:144 offset1:180
	;; [unrolled: 1-line block ×3, first 2 shown]
	v_add_u32_e32 v33, 0x800, v77
	ds_write2_b64 v33, v[49:50], v[51:52] offset0:32 offset1:68
	s_and_saveexec_b64 s[2:3], s[0:1]
	s_cbranch_execz .LBB0_10
; %bb.9:
	v_mul_f32_e32 v33, v3, v20
	v_mul_f32_e32 v34, v15, v32
	;; [unrolled: 1-line block ×3, first 2 shown]
	v_fmac_f32_e32 v33, v4, v19
	v_fmac_f32_e32 v34, v16, v31
	;; [unrolled: 1-line block ×3, first 2 shown]
	v_mul_f32_e32 v4, v4, v20
	v_mul_f32_e32 v16, v16, v32
	;; [unrolled: 1-line block ×3, first 2 shown]
	v_fma_f32 v19, v3, v19, -v4
	v_add_f32_e32 v4, v34, v37
	v_mul_f32_e32 v36, v11, v24
	v_fma_f32 v15, v15, v31, -v16
	v_fma_f32 v16, v7, v27, -v8
	v_mul_f32_e32 v3, v12, v24
	v_fma_f32 v20, -0.5, v4, v57
	v_mul_f32_e32 v4, v14, v30
	v_mul_f32_e32 v8, v59, v61
	v_fmac_f32_e32 v36, v12, v23
	v_fma_f32 v11, v11, v23, -v3
	v_fma_f32 v23, v13, v29, -v4
	v_mul_f32_e32 v4, v6, v26
	v_fma_f32 v27, v58, v60, -v8
	v_mul_f32_e32 v8, v10, v22
	v_fma_f32 v24, v5, v25, -v4
	v_fma_f32 v28, v9, v21, -v8
	v_sub_f32_e32 v4, v23, v24
	v_sub_f32_e32 v8, v27, v28
	v_mul_f32_e32 v13, v13, v30
	v_add_f32_e32 v8, v4, v8
	v_mul_f32_e32 v4, v2, v18
	v_fmac_f32_e32 v13, v14, v29
	v_mul_f32_e32 v14, v58, v61
	v_mul_f32_e32 v5, v5, v26
	;; [unrolled: 1-line block ×3, first 2 shown]
	v_fma_f32 v31, v1, v17, -v4
	v_add_f32_e32 v4, v24, v28
	v_fmac_f32_e32 v14, v59, v60
	v_fmac_f32_e32 v5, v6, v25
	v_fmac_f32_e32 v9, v10, v21
	v_fma_f32 v32, -0.5, v4, v31
	v_sub_f32_e32 v4, v13, v5
	v_sub_f32_e32 v6, v14, v9
	v_add_f32_e32 v21, v4, v6
	v_sub_f32_e32 v4, v34, v33
	v_sub_f32_e32 v6, v37, v36
	;; [unrolled: 1-line block ×4, first 2 shown]
	v_add_f32_e32 v6, v4, v6
	v_add_f32_e32 v4, v33, v36
	;; [unrolled: 1-line block ×3, first 2 shown]
	v_fma_f32 v38, -0.5, v4, v57
	v_sub_f32_e32 v4, v24, v23
	v_sub_f32_e32 v40, v28, v27
	v_add_f32_e32 v40, v4, v40
	v_add_f32_e32 v4, v23, v27
	v_sub_f32_e32 v7, v15, v16
	v_mul_f32_e32 v1, v1, v18
	v_mov_b32_e32 v39, v38
	v_fma_f32 v41, -0.5, v4, v31
	v_sub_f32_e32 v4, v5, v13
	v_sub_f32_e32 v43, v9, v14
	;; [unrolled: 1-line block ×3, first 2 shown]
	v_mov_b32_e32 v12, v20
	v_fmac_f32_e32 v1, v2, v17
	v_add_f32_e32 v2, v5, v9
	v_fmac_f32_e32 v39, 0xbf737871, v7
	v_add_f32_e32 v43, v4, v43
	v_add_f32_e32 v4, v13, v14
	v_fmac_f32_e32 v38, 0x3f737871, v7
	v_fmac_f32_e32 v12, 0x3f737871, v3
	v_fma_f32 v17, -0.5, v2, v1
	v_fmac_f32_e32 v39, 0x3f167918, v3
	v_fma_f32 v44, -0.5, v4, v1
	v_fmac_f32_e32 v38, 0xbf167918, v3
	v_fmac_f32_e32 v20, 0xbf737871, v3
	v_add_f32_e32 v3, v57, v33
	v_add_f32_e32 v1, v1, v13
	v_sub_f32_e32 v25, v23, v27
	v_mov_b32_e32 v18, v17
	v_add_f32_e32 v3, v3, v34
	v_add_f32_e32 v1, v1, v5
	v_sub_f32_e32 v22, v24, v28
	v_fmac_f32_e32 v18, 0x3f737871, v25
	v_mov_b32_e32 v45, v44
	v_fmac_f32_e32 v17, 0xbf737871, v25
	v_add_f32_e32 v3, v3, v37
	v_add_f32_e32 v1, v1, v9
	v_sub_f32_e32 v29, v13, v14
	v_fmac_f32_e32 v18, 0x3f167918, v22
	v_fmac_f32_e32 v45, 0xbf737871, v22
	;; [unrolled: 1-line block ×4, first 2 shown]
	v_add_f32_e32 v22, v3, v36
	v_add_f32_e32 v13, v1, v14
	v_sub_f32_e32 v1, v19, v15
	v_sub_f32_e32 v3, v11, v16
	v_fmac_f32_e32 v12, 0x3f167918, v7
	v_sub_f32_e32 v10, v5, v9
	v_fmac_f32_e32 v20, 0xbf167918, v7
	v_add_f32_e32 v7, v1, v3
	v_sub_f32_e32 v3, v15, v19
	v_sub_f32_e32 v5, v16, v11
	v_add_f32_e32 v5, v3, v5
	v_add_f32_e32 v3, v19, v11
	v_mov_b32_e32 v42, v41
	v_add_f32_e32 v1, v15, v16
	v_sub_f32_e32 v9, v33, v36
	v_fma_f32 v33, -0.5, v3, v56
	v_mov_b32_e32 v30, v32
	v_fmac_f32_e32 v42, 0x3f737871, v10
	v_fmac_f32_e32 v45, 0x3f167918, v25
	;; [unrolled: 1-line block ×4, first 2 shown]
	v_fma_f32 v25, -0.5, v1, v56
	v_sub_f32_e32 v14, v34, v37
	v_mov_b32_e32 v34, v33
	v_fmac_f32_e32 v30, 0xbf737871, v29
	v_fmac_f32_e32 v42, 0xbf167918, v29
	;; [unrolled: 1-line block ×4, first 2 shown]
	v_mov_b32_e32 v29, v25
	v_fmac_f32_e32 v34, 0x3f737871, v14
	v_fmac_f32_e32 v33, 0xbf737871, v14
	;; [unrolled: 1-line block ×6, first 2 shown]
	v_add_f32_e32 v9, v56, v19
	v_add_f32_e32 v9, v9, v15
	v_fmac_f32_e32 v32, 0x3f167918, v10
	v_add_f32_e32 v9, v9, v16
	v_fmac_f32_e32 v32, 0x3e9e377a, v8
	v_add_f32_e32 v19, v9, v11
	v_add_f32_e32 v9, v31, v23
	v_fmac_f32_e32 v30, 0xbf167918, v10
	v_fmac_f32_e32 v18, 0x3e9e377a, v21
	;; [unrolled: 1-line block ×3, first 2 shown]
	v_mul_f32_e32 v21, 0xbf167918, v32
	v_add_f32_e32 v9, v9, v24
	v_fmac_f32_e32 v30, 0x3e9e377a, v8
	v_fmac_f32_e32 v42, 0x3e9e377a, v40
	;; [unrolled: 1-line block ×7, first 2 shown]
	v_mul_f32_e32 v17, 0x3f167918, v17
	v_add_f32_e32 v9, v9, v28
	v_mul_f32_e32 v2, 0x3f4f1bbd, v18
	v_mul_f32_e32 v4, 0x3e9e377a, v45
	;; [unrolled: 1-line block ×3, first 2 shown]
	v_fmac_f32_e32 v20, 0x3e9e377a, v35
	v_fmac_f32_e32 v29, 0xbf167918, v14
	v_mul_f32_e32 v1, 0x3f4f1bbd, v30
	v_mul_f32_e32 v3, 0x3e9e377a, v42
	;; [unrolled: 1-line block ×3, first 2 shown]
	v_fmac_f32_e32 v25, 0x3e9e377a, v7
	v_fmac_f32_e32 v17, 0x3f4f1bbd, v32
	v_add_f32_e32 v23, v9, v27
	v_fmac_f32_e32 v12, 0x3e9e377a, v35
	v_fma_f32 v26, v30, s13, -v2
	v_fmac_f32_e32 v39, 0x3e9e377a, v6
	v_fma_f32 v46, v42, s11, -v4
	v_fmac_f32_e32 v38, 0x3e9e377a, v6
	v_fmac_f32_e32 v40, 0x3e9e377a, v44
	v_sub_f32_e32 v8, v20, v21
	v_fmac_f32_e32 v29, 0x3e9e377a, v7
	v_fma_f32 v30, v18, s10, -v1
	v_fmac_f32_e32 v34, 0x3e9e377a, v5
	v_fma_f32 v35, v45, s7, -v3
	v_fmac_f32_e32 v33, 0x3e9e377a, v5
	v_fmac_f32_e32 v36, 0x3e9e377a, v41
	v_sub_f32_e32 v7, v25, v17
	v_sub_f32_e32 v9, v19, v23
	v_add_f32_e32 v18, v20, v21
	v_add_f32_e32 v20, v22, v13
	;; [unrolled: 1-line block ×4, first 2 shown]
	v_add_u32_e32 v21, 0x3800, v70
	v_sub_f32_e32 v2, v12, v26
	v_sub_f32_e32 v6, v38, v40
	;; [unrolled: 1-line block ×4, first 2 shown]
	v_add_f32_e32 v12, v12, v26
	v_add_f32_e32 v14, v39, v46
	;; [unrolled: 1-line block ×6, first 2 shown]
	ds_write2_b64 v21, v[19:20], v[17:18] offset0:8 offset1:44
	ds_write2_b64 v21, v[15:16], v[13:14] offset0:80 offset1:116
	;; [unrolled: 1-line block ×3, first 2 shown]
	v_add_u32_e32 v9, 0x3c00, v70
	v_sub_f32_e32 v4, v39, v46
	v_sub_f32_e32 v1, v29, v30
	;; [unrolled: 1-line block ×3, first 2 shown]
	ds_write2_b64 v9, v[7:8], v[5:6] offset0:96 offset1:132
	v_add_u32_e32 v5, 0x4000, v70
	ds_write2_b64 v5, v[3:4], v[1:2] offset0:40 offset1:76
.LBB0_10:
	s_or_b64 exec, exec, s[2:3]
	v_mul_lo_u16_e32 v5, 13, v63
	v_lshlrev_b32_e32 v1, 4, v68
	v_lshrrev_b16_e32 v41, 9, v5
	s_waitcnt lgkmcnt(0)
	s_barrier
	global_load_dwordx4 v[1:4], v1, s[16:17] offset:304
	v_mul_lo_u16_e32 v5, 40, v41
	v_sub_u16_e32 v5, v63, v5
	v_and_b32_e32 v44, 0xff, v5
	v_mul_lo_u16_e32 v6, 0x67, v62
	v_mul_lo_u16_e32 v7, 0x67, v64
	v_lshlrev_b32_e32 v5, 4, v44
	v_lshrrev_b16_e32 v42, 12, v6
	v_lshrrev_b16_e32 v43, 12, v7
	global_load_dwordx4 v[5:8], v5, s[16:17] offset:304
	v_mul_lo_u16_e32 v9, 40, v42
	v_sub_u16_e32 v9, v62, v9
	v_and_b32_e32 v45, 0xff, v9
	v_lshlrev_b32_e32 v9, 4, v45
	global_load_dwordx4 v[9:12], v9, s[16:17] offset:304
	v_mul_lo_u16_e32 v13, 40, v43
	v_sub_u16_e32 v13, v64, v13
	v_and_b32_e32 v46, 0xff, v13
	v_lshlrev_b32_e32 v13, 4, v46
	global_load_dwordx4 v[13:16], v13, s[16:17] offset:304
	v_add_u32_e32 v17, 0x2600, v70
	v_add_u32_e32 v21, 0x1c00, v70
	;; [unrolled: 1-line block ×3, first 2 shown]
	ds_read_b64 v[29:30], v70
	ds_read_b64 v[31:32], v75
	;; [unrolled: 1-line block ×5, first 2 shown]
	ds_read_b64 v[39:40], v70 offset:15840
	ds_read2_b64 v[17:20], v17 offset0:44 offset1:224
	ds_read2_b64 v[21:24], v21 offset0:4 offset1:184
	;; [unrolled: 1-line block ×3, first 2 shown]
	s_movk_i32 s0, 0x78
	s_waitcnt vmcnt(0) lgkmcnt(0)
	s_barrier
	s_mov_b32 s11, 0x20000
	s_mov_b32 s10, -2
	v_mul_f32_e32 v47, v2, v34
	v_mul_f32_e32 v2, v2, v33
	;; [unrolled: 1-line block ×3, first 2 shown]
	v_fma_f32 v33, v1, v33, -v47
	v_fmac_f32_e32 v2, v1, v34
	v_fma_f32 v1, v3, v19, -v48
	v_mul_f32_e32 v4, v4, v19
	v_add_f32_e32 v19, v33, v1
	v_fmac_f32_e32 v4, v3, v20
	v_add_f32_e32 v3, v29, v33
	v_add_f32_e32 v34, v30, v2
	v_fma_f32 v29, -0.5, v19, v29
	v_sub_f32_e32 v20, v2, v4
	v_add_f32_e32 v47, v2, v4
	v_sub_f32_e32 v33, v33, v1
	v_add_f32_e32 v1, v3, v1
	v_add_f32_e32 v2, v34, v4
	v_mov_b32_e32 v3, v29
	v_mul_f32_e32 v19, v6, v22
	v_mul_f32_e32 v34, v6, v21
	;; [unrolled: 1-line block ×3, first 2 shown]
	v_fmac_f32_e32 v29, 0xbf5db3d7, v20
	v_fmac_f32_e32 v3, 0x3f5db3d7, v20
	v_fma_f32 v19, v5, v21, -v19
	v_fma_f32 v20, v7, v25, -v6
	v_mul_f32_e32 v8, v8, v25
	v_add_f32_e32 v6, v19, v20
	v_fmac_f32_e32 v34, v5, v22
	v_fmac_f32_e32 v8, v7, v26
	v_add_f32_e32 v5, v37, v19
	v_fma_f32 v37, -0.5, v6, v37
	v_sub_f32_e32 v6, v34, v8
	v_mov_b32_e32 v7, v37
	v_fmac_f32_e32 v7, 0x3f5db3d7, v6
	v_fmac_f32_e32 v37, 0xbf5db3d7, v6
	v_add_f32_e32 v6, v38, v34
	v_fmac_f32_e32 v30, -0.5, v47
	v_mul_f32_e32 v47, v10, v24
	v_mul_f32_e32 v48, v10, v23
	;; [unrolled: 1-line block ×3, first 2 shown]
	v_add_f32_e32 v6, v6, v8
	v_add_f32_e32 v8, v34, v8
	v_fma_f32 v21, v9, v23, -v47
	v_fma_f32 v22, v27, v11, -v10
	v_fmac_f32_e32 v38, -0.5, v8
	v_mul_f32_e32 v12, v27, v12
	v_fmac_f32_e32 v48, v9, v24
	v_sub_f32_e32 v9, v19, v20
	v_mov_b32_e32 v8, v38
	v_add_f32_e32 v10, v21, v22
	v_fmac_f32_e32 v12, v28, v11
	v_fmac_f32_e32 v8, 0xbf5db3d7, v9
	;; [unrolled: 1-line block ×3, first 2 shown]
	v_add_f32_e32 v9, v31, v21
	v_fma_f32 v31, -0.5, v10, v31
	v_sub_f32_e32 v10, v48, v12
	v_mov_b32_e32 v11, v31
	v_fmac_f32_e32 v11, 0x3f5db3d7, v10
	v_fmac_f32_e32 v31, 0xbf5db3d7, v10
	v_add_f32_e32 v10, v32, v48
	v_mul_f32_e32 v49, v18, v14
	v_mul_f32_e32 v50, v17, v14
	;; [unrolled: 1-line block ×3, first 2 shown]
	v_add_f32_e32 v10, v10, v12
	v_add_f32_e32 v12, v48, v12
	v_fma_f32 v17, v17, v13, -v49
	v_fmac_f32_e32 v50, v18, v13
	v_fma_f32 v18, v39, v15, -v14
	v_fmac_f32_e32 v32, -0.5, v12
	v_mul_f32_e32 v16, v39, v16
	v_sub_f32_e32 v13, v21, v22
	v_mov_b32_e32 v12, v32
	v_add_f32_e32 v14, v17, v18
	v_fmac_f32_e32 v16, v40, v15
	v_fmac_f32_e32 v12, 0xbf5db3d7, v13
	;; [unrolled: 1-line block ×3, first 2 shown]
	v_add_f32_e32 v13, v35, v17
	v_fma_f32 v35, -0.5, v14, v35
	v_sub_f32_e32 v14, v50, v16
	v_mov_b32_e32 v15, v35
	v_fmac_f32_e32 v15, 0x3f5db3d7, v14
	v_fmac_f32_e32 v35, 0xbf5db3d7, v14
	v_add_f32_e32 v14, v36, v50
	v_add_f32_e32 v14, v14, v16
	;; [unrolled: 1-line block ×3, first 2 shown]
	v_fmac_f32_e32 v36, -0.5, v16
	v_sub_f32_e32 v17, v17, v18
	v_mov_b32_e32 v16, v36
	v_fmac_f32_e32 v16, 0xbf5db3d7, v17
	v_fmac_f32_e32 v36, 0x3f5db3d7, v17
	v_mul_u32_u24_e32 v17, 0x48, v68
	v_mov_b32_e32 v4, v30
	v_add3_u32 v17, 0, v17, v72
	v_fmac_f32_e32 v30, 0x3f5db3d7, v33
	v_fmac_f32_e32 v4, 0xbf5db3d7, v33
	ds_write_b64 v17, v[1:2]
	ds_write_b64 v17, v[3:4] offset:2880
	ds_write_b64 v17, v[29:30] offset:5760
	v_mad_u32_u24 v1, v41, s0, v44
	v_mul_u32_u24_e32 v1, 0x48, v1
	v_add_f32_e32 v5, v5, v20
	v_add3_u32 v1, 0, v1, v72
	ds_write_b64 v1, v[5:6]
	ds_write_b64 v1, v[7:8] offset:2880
	ds_write_b64 v1, v[37:38] offset:5760
	v_mad_u32_u24 v1, v42, s0, v45
	v_mul_u32_u24_e32 v1, 0x48, v1
	v_add_f32_e32 v9, v9, v22
	v_add3_u32 v1, 0, v1, v72
	;; [unrolled: 7-line block ×3, first 2 shown]
	ds_write_b64 v1, v[13:14]
	ds_write_b64 v1, v[15:16] offset:2880
	ds_write_b64 v1, v[35:36] offset:5760
	v_lshlrev_b32_e32 v1, 3, v68
	s_movk_i32 s0, 0x384
	s_waitcnt lgkmcnt(0)
	s_barrier
	global_load_dwordx2 v[14:15], v1, s[16:17] offset:944
	v_add_u32_e32 v1, 0xffffff9c, v68
	v_cmp_gt_u32_e64 s[0:1], s0, v0
	v_cndmask_b32_e64 v16, v1, v63, s[0:1]
	v_mov_b32_e32 v17, 0
	v_lshlrev_b64 v[1:2], 3, v[16:17]
	v_mov_b32_e32 v9, s17
	v_add_co_u32_e64 v3, s[0:1], s16, v1
	v_addc_co_u32_e64 v4, s[0:1], v9, v2, s[0:1]
	s_movk_i32 s0, 0x2d0
	v_add_u32_e32 v1, 0xffffffb0, v68
	v_cmp_gt_u32_e64 s[0:1], s0, v0
	v_cndmask_b32_e64 v18, v1, v62, s[0:1]
	v_mov_b32_e32 v19, v17
	v_lshlrev_b64 v[1:2], 3, v[18:19]
	v_mov_b32_e32 v26, v17
	v_add_co_u32_e64 v5, s[0:1], s16, v1
	v_addc_co_u32_e64 v6, s[0:1], v9, v2, s[0:1]
	s_movk_i32 s0, 0x21c
	v_subrev_u32_e32 v1, 60, v68
	v_cmp_gt_u32_e64 s[0:1], s0, v0
	v_cndmask_b32_e64 v1, v1, v64, s[0:1]
	v_mov_b32_e32 v2, v17
	v_lshlrev_b64 v[7:8], 3, v[1:2]
	v_subrev_u32_e32 v2, 40, v68
	v_add_co_u32_e64 v7, s[0:1], s16, v7
	v_addc_co_u32_e64 v8, s[0:1], v9, v8, s[0:1]
	global_load_dwordx2 v[19:20], v[3:4], off offset:944
	global_load_dwordx2 v[21:22], v[5:6], off offset:944
	;; [unrolled: 1-line block ×3, first 2 shown]
	s_movk_i32 s0, 0x168
	v_cmp_gt_u32_e64 s[0:1], s0, v0
	v_cndmask_b32_e64 v25, v2, v66, s[0:1]
	v_lshlrev_b64 v[2:3], 3, v[25:26]
	v_mov_b32_e32 v29, v17
	v_add_co_u32_e64 v2, s[0:1], s16, v2
	v_addc_co_u32_e64 v3, s[0:1], v9, v3, s[0:1]
	s_movk_i32 s0, 0xb4
	global_load_dwordx2 v[26:27], v[2:3], off offset:944
	v_subrev_u32_e32 v2, 20, v68
	v_cmp_gt_u32_e64 s[0:1], s0, v0
	v_cndmask_b32_e64 v28, v2, v65, s[0:1]
	v_lshlrev_b64 v[2:3], 3, v[28:29]
	v_add_u32_e32 v0, 0x2000, v70
	v_add_co_u32_e64 v2, s[0:1], s16, v2
	v_addc_co_u32_e64 v3, s[0:1], v9, v3, s[0:1]
	global_load_dwordx2 v[29:30], v[2:3], off offset:944
	ds_read2_b64 v[2:5], v0 offset0:56 offset1:236
	v_add_u32_e32 v0, 0x2c00, v70
	ds_read2_b64 v[6:9], v0 offset0:32 offset1:212
	ds_read_b64 v[31:32], v70
	ds_read_b64 v[33:34], v71
	;; [unrolled: 1-line block ×4, first 2 shown]
	s_load_dwordx2 s[0:1], s[4:5], 0x8
	v_mov_b32_e32 v49, 3
	v_add_u32_e32 v0, 0x3800, v70
	ds_read2_b64 v[10:13], v0 offset0:8 offset1:188
	ds_read_b64 v[39:40], v74
	ds_read_b32 v0, v73
	ds_read_b64 v[41:42], v73
	ds_read_b32 v17, v73 offset:4
	v_add_u32_e32 v84, 0x78, v28
	s_waitcnt vmcnt(5) lgkmcnt(0)
	v_mul_f32_e32 v43, v15, v3
	v_fma_f32 v43, v14, v2, -v43
	v_mul_f32_e32 v15, v15, v2
	v_fmac_f32_e32 v15, v14, v3
	v_sub_f32_e32 v57, v32, v15
	v_sub_f32_e32 v56, v31, v43
	v_fma_f32 v50, v31, 2.0, -v56
	v_fma_f32 v51, v32, 2.0, -v57
	s_waitcnt vmcnt(4)
	v_mul_f32_e32 v2, v20, v5
	v_fma_f32 v14, v19, v4, -v2
	v_mul_f32_e32 v20, v20, v4
	s_waitcnt vmcnt(3)
	v_mul_f32_e32 v2, v22, v7
	v_fmac_f32_e32 v20, v19, v5
	v_fma_f32 v19, v21, v6, -v2
	v_mul_lo_u32 v2, v55, v68
	v_mul_f32_e32 v22, v22, v6
	s_waitcnt vmcnt(2)
	v_mul_f32_e32 v3, v24, v9
	v_fmac_f32_e32 v22, v21, v7
	v_lshlrev_b32_sdwa v6, v49, v2 dst_sel:DWORD dst_unused:UNUSED_PAD src0_sel:DWORD src1_sel:BYTE_0
	v_fma_f32 v21, v23, v8, -v3
	v_lshlrev_b32_sdwa v7, v49, v2 dst_sel:DWORD dst_unused:UNUSED_PAD src0_sel:DWORD src1_sel:BYTE_1
	global_load_dwordx2 v[2:3], v6, s[0:1]
	global_load_dwordx2 v[4:5], v7, s[0:1] offset:2048
	s_waitcnt vmcnt(3)
	v_mul_f32_e32 v6, v27, v11
	v_fma_f32 v44, v26, v10, -v6
	v_mul_f32_e32 v24, v24, v8
	v_mul_f32_e32 v45, v27, v10
	v_fmac_f32_e32 v24, v23, v9
	v_fmac_f32_e32 v45, v26, v11
	v_sub_f32_e32 v58, v33, v14
	v_sub_f32_e32 v72, v37, v21
	v_add_u32_e32 v21, 0x78, v18
	s_waitcnt vmcnt(2)
	v_mul_f32_e32 v6, v13, v30
	v_fma_f32 v46, v12, v29, -v6
	v_mul_lo_u32 v6, v55, v69
	v_mul_f32_e32 v47, v12, v30
	v_fmac_f32_e32 v47, v13, v29
	v_sub_f32_e32 v68, v35, v19
	v_lshlrev_b32_sdwa v10, v49, v6 dst_sel:DWORD dst_unused:UNUSED_PAD src0_sel:DWORD src1_sel:BYTE_0
	v_lshlrev_b32_sdwa v11, v49, v6 dst_sel:DWORD dst_unused:UNUSED_PAD src0_sel:DWORD src1_sel:BYTE_1
	global_load_dwordx2 v[6:7], v10, s[0:1]
	global_load_dwordx2 v[8:9], v11, s[0:1] offset:2048
	v_mul_lo_u32 v10, v55, v16
	v_mul_lo_u32 v26, v55, v18
	v_mul_lo_u32 v29, v55, v21
	v_sub_f32_e32 v69, v36, v22
	v_lshlrev_b32_sdwa v14, v49, v10 dst_sel:DWORD dst_unused:UNUSED_PAD src0_sel:DWORD src1_sel:BYTE_0
	v_lshlrev_b32_sdwa v15, v49, v10 dst_sel:DWORD dst_unused:UNUSED_PAD src0_sel:DWORD src1_sel:BYTE_1
	v_add_u32_e32 v10, 0x78, v16
	v_mul_lo_u32 v19, v55, v10
	v_lshlrev_b32_sdwa v27, v49, v26 dst_sel:DWORD dst_unused:UNUSED_PAD src0_sel:DWORD src1_sel:BYTE_0
	v_lshlrev_b32_sdwa v26, v49, v26 dst_sel:DWORD dst_unused:UNUSED_PAD src0_sel:DWORD src1_sel:BYTE_1
	v_lshlrev_b32_sdwa v31, v49, v29 dst_sel:DWORD dst_unused:UNUSED_PAD src0_sel:DWORD src1_sel:BYTE_0
	v_lshlrev_b32_sdwa v22, v49, v19 dst_sel:DWORD dst_unused:UNUSED_PAD src0_sel:DWORD src1_sel:BYTE_0
	v_lshlrev_b32_sdwa v23, v49, v19 dst_sel:DWORD dst_unused:UNUSED_PAD src0_sel:DWORD src1_sel:BYTE_1
	v_sub_f32_e32 v59, v34, v20
	global_load_dwordx2 v[10:11], v14, s[0:1]
	global_load_dwordx2 v[12:13], v15, s[0:1] offset:2048
	s_nop 0
	global_load_dwordx2 v[14:15], v22, s[0:1]
	global_load_dwordx2 v[19:20], v23, s[0:1] offset:2048
	v_sub_f32_e32 v73, v38, v24
	global_load_dwordx2 v[21:22], v27, s[0:1]
	global_load_dwordx2 v[23:24], v26, s[0:1] offset:2048
	v_lshlrev_b32_sdwa v32, v49, v29 dst_sel:DWORD dst_unused:UNUSED_PAD src0_sel:DWORD src1_sel:BYTE_1
	global_load_dwordx2 v[26:27], v31, s[0:1]
	global_load_dwordx2 v[29:30], v32, s[0:1] offset:2048
	v_add_u32_e32 v31, 0x78, v1
	v_fma_f32 v60, v33, 2.0, -v58
	v_fma_f32 v74, v37, 2.0, -v72
	v_mul_lo_u32 v33, v55, v1
	v_mul_lo_u32 v37, v55, v31
	v_sub_f32_e32 v76, v39, v44
	v_fma_f32 v70, v35, 2.0, -v68
	v_fma_f32 v71, v36, 2.0, -v69
	v_sub_f32_e32 v77, v40, v45
	v_fma_f32 v78, v39, 2.0, -v76
	v_lshlrev_b32_sdwa v35, v49, v33 dst_sel:DWORD dst_unused:UNUSED_PAD src0_sel:DWORD src1_sel:BYTE_0
	v_lshlrev_b32_sdwa v36, v49, v33 dst_sel:DWORD dst_unused:UNUSED_PAD src0_sel:DWORD src1_sel:BYTE_1
	v_sub_f32_e32 v80, v41, v46
	v_lshlrev_b32_sdwa v39, v49, v37 dst_sel:DWORD dst_unused:UNUSED_PAD src0_sel:DWORD src1_sel:BYTE_0
	v_mul_lo_u32 v41, v55, v25
	v_fma_f32 v61, v34, 2.0, -v59
	v_fma_f32 v75, v38, 2.0, -v73
	global_load_dwordx2 v[31:32], v35, s[0:1]
	global_load_dwordx2 v[33:34], v36, s[0:1] offset:2048
	v_fma_f32 v79, v40, 2.0, -v77
	v_lshlrev_b32_sdwa v40, v49, v37 dst_sel:DWORD dst_unused:UNUSED_PAD src0_sel:DWORD src1_sel:BYTE_1
	global_load_dwordx2 v[35:36], v39, s[0:1]
	global_load_dwordx2 v[37:38], v40, s[0:1] offset:2048
	v_add_u32_e32 v39, 0x78, v25
	v_mul_lo_u32 v45, v55, v39
	v_lshlrev_b32_sdwa v43, v49, v41 dst_sel:DWORD dst_unused:UNUSED_PAD src0_sel:DWORD src1_sel:BYTE_0
	v_sub_f32_e32 v81, v42, v47
	v_lshlrev_b32_sdwa v44, v49, v41 dst_sel:DWORD dst_unused:UNUSED_PAD src0_sel:DWORD src1_sel:BYTE_1
	global_load_dwordx2 v[39:40], v43, s[0:1]
	global_load_dwordx2 v[41:42], v44, s[0:1] offset:2048
	v_fma_f32 v0, v0, 2.0, -v80
	v_fma_f32 v17, v17, 2.0, -v81
	v_sub_u32_e32 v1, v64, v1
	v_add_u32_e32 v1, v1, v64
	s_waitcnt vmcnt(16)
	v_mul_f32_e32 v43, v3, v5
	v_fma_f32 v52, v2, v4, -v43
	v_mul_f32_e32 v82, v2, v5
	v_lshlrev_b32_sdwa v2, v49, v45 dst_sel:DWORD dst_unused:UNUSED_PAD src0_sel:DWORD src1_sel:BYTE_0
	v_lshlrev_b32_sdwa v5, v49, v45 dst_sel:DWORD dst_unused:UNUSED_PAD src0_sel:DWORD src1_sel:BYTE_1
	global_load_dwordx2 v[43:44], v2, s[0:1]
	global_load_dwordx2 v[45:46], v5, s[0:1] offset:2048
	v_mul_lo_u32 v5, v55, v28
	v_mul_lo_u32 v55, v55, v84
	v_fmac_f32_e32 v82, v3, v4
	v_mul_f32_e32 v2, v51, v82
	v_lshlrev_b32_sdwa v3, v49, v5 dst_sel:DWORD dst_unused:UNUSED_PAD src0_sel:DWORD src1_sel:BYTE_0
	v_lshlrev_b32_sdwa v83, v49, v5 dst_sel:DWORD dst_unused:UNUSED_PAD src0_sel:DWORD src1_sel:BYTE_1
	global_load_dwordx2 v[4:5], v3, s[0:1]
	global_load_dwordx2 v[47:48], v83, s[0:1] offset:2048
	v_mul_f32_e32 v3, v50, v82
	v_lshlrev_b32_sdwa v83, v49, v55 dst_sel:DWORD dst_unused:UNUSED_PAD src0_sel:DWORD src1_sel:BYTE_0
	v_fma_f32 v2, v50, v52, -v2
	v_fmac_f32_e32 v3, v51, v52
	v_lshlrev_b32_sdwa v55, v49, v55 dst_sel:DWORD dst_unused:UNUSED_PAD src0_sel:DWORD src1_sel:BYTE_1
	global_load_dwordx2 v[49:50], v83, s[0:1]
	global_load_dwordx2 v[51:52], v55, s[0:1] offset:2048
	s_waitcnt vmcnt(20)
	v_mul_f32_e32 v82, v7, v9
	v_mul_f32_e32 v9, v6, v9
	v_fmac_f32_e32 v9, v7, v8
	v_fma_f32 v55, v6, v8, -v82
	v_mul_f32_e32 v6, v57, v9
	v_mul_f32_e32 v7, v56, v9
	v_fma_f32 v6, v56, v55, -v6
	v_fmac_f32_e32 v7, v57, v55
	buffer_store_dwordx2 v[2:3], v54, s[8:11], s6 offen
	buffer_store_dwordx2 v[6:7], v67, s[8:11], s6 offen
	s_waitcnt vmcnt(20)
	v_mul_f32_e32 v9, v10, v13
	v_mul_f32_e32 v8, v11, v13
	v_fmac_f32_e32 v9, v11, v12
	s_waitcnt vmcnt(18)
	v_mul_f32_e32 v11, v14, v20
	v_fma_f32 v55, v10, v12, -v8
	v_mul_f32_e32 v10, v15, v20
	v_fmac_f32_e32 v11, v15, v19
	v_fma_f32 v12, v14, v19, -v10
	v_mul_f32_e32 v10, v59, v11
	v_mul_f32_e32 v11, v58, v11
	s_waitcnt vmcnt(16)
	v_mul_f32_e32 v13, v21, v24
	v_fma_f32 v10, v58, v12, -v10
	v_fmac_f32_e32 v11, v59, v12
	v_mul_f32_e32 v12, v22, v24
	v_fmac_f32_e32 v13, v22, v23
	v_fma_f32 v14, v21, v23, -v12
	v_mul_f32_e32 v12, v71, v13
	v_mul_f32_e32 v13, v70, v13
	s_waitcnt vmcnt(14)
	v_mul_f32_e32 v15, v26, v30
	v_fma_f32 v12, v70, v14, -v12
	v_fmac_f32_e32 v13, v71, v14
	;; [unrolled: 9-line block ×5, first 2 shown]
	v_mul_f32_e32 v23, v40, v42
	v_fmac_f32_e32 v24, v40, v41
	v_fma_f32 v26, v39, v41, -v23
	v_mul_f32_e32 v23, v79, v24
	v_mul_f32_e32 v24, v78, v24
	v_fma_f32 v23, v78, v26, -v23
	v_fmac_f32_e32 v24, v79, v26
	s_waitcnt vmcnt(6)
	v_mul_f32_e32 v27, v43, v46
	v_mul_f32_e32 v26, v44, v46
	v_fmac_f32_e32 v27, v44, v45
	v_fma_f32 v29, v43, v45, -v26
	v_mul_f32_e32 v26, v77, v27
	v_mul_f32_e32 v27, v76, v27
	v_fma_f32 v26, v76, v29, -v26
	s_waitcnt vmcnt(4)
	v_mul_f32_e32 v30, v4, v48
	v_fmac_f32_e32 v27, v77, v29
	v_mul_f32_e32 v29, v5, v48
	v_fmac_f32_e32 v30, v5, v47
	v_fma_f32 v29, v4, v47, -v29
	v_mul_f32_e32 v5, v0, v30
	v_mul_f32_e32 v4, v17, v30
	v_fmac_f32_e32 v5, v17, v29
	s_waitcnt vmcnt(2)
	v_mul_f32_e32 v17, v49, v52
	v_fma_f32 v4, v0, v29, -v4
	v_mul_f32_e32 v0, v50, v52
	v_fmac_f32_e32 v17, v50, v51
	v_fma_f32 v0, v49, v51, -v0
	v_mul_f32_e32 v29, v81, v17
	v_mul_f32_e32 v30, v80, v17
	v_fma_f32 v29, v80, v0, -v29
	v_fmac_f32_e32 v30, v81, v0
	v_sub_u32_e32 v0, v63, v16
	v_add_u32_e32 v0, v0, v63
	v_mul_lo_u32 v2, s12, v0
	v_add_u32_e32 v0, 0x78, v0
	v_mul_lo_u32 v0, s12, v0
	v_mul_f32_e32 v8, v61, v9
	v_mul_f32_e32 v9, v60, v9
	v_add_lshl_u32 v2, v53, v2, 3
	v_fma_f32 v8, v60, v55, -v8
	v_fmac_f32_e32 v9, v61, v55
	v_cndmask_b32_e32 v2, -1, v2, vcc
	buffer_store_dwordx2 v[8:9], v2, s[8:11], s6 offen
	v_sub_u32_e32 v2, v62, v18
	v_add_lshl_u32 v0, v53, v0, 3
	v_add_u32_e32 v2, v2, v62
	v_cndmask_b32_e32 v0, -1, v0, vcc
	v_mul_lo_u32 v3, s12, v2
	buffer_store_dwordx2 v[10:11], v0, s[8:11], s6 offen
	v_add_u32_e32 v0, 0x78, v2
	v_mul_lo_u32 v0, s12, v0
	v_add_lshl_u32 v2, v53, v3, 3
	v_cndmask_b32_e32 v2, -1, v2, vcc
	buffer_store_dwordx2 v[12:13], v2, s[8:11], s6 offen
	v_add_lshl_u32 v0, v53, v0, 3
	v_mul_lo_u32 v2, s12, v1
	v_cndmask_b32_e32 v0, -1, v0, vcc
	buffer_store_dwordx2 v[14:15], v0, s[8:11], s6 offen
	v_add_u32_e32 v0, 0x78, v1
	v_mul_lo_u32 v0, s12, v0
	v_add_lshl_u32 v1, v53, v2, 3
	v_cndmask_b32_e32 v1, -1, v1, vcc
	buffer_store_dwordx2 v[19:20], v1, s[8:11], s6 offen
	v_sub_u32_e32 v1, v66, v25
	v_add_lshl_u32 v0, v53, v0, 3
	v_add_u32_e32 v1, v1, v66
	v_cndmask_b32_e32 v0, -1, v0, vcc
	v_mul_lo_u32 v2, s12, v1
	buffer_store_dwordx2 v[21:22], v0, s[8:11], s6 offen
	v_add_u32_e32 v0, 0x78, v1
	v_mul_lo_u32 v0, s12, v0
	v_add_lshl_u32 v1, v53, v2, 3
	v_cndmask_b32_e32 v1, -1, v1, vcc
	buffer_store_dwordx2 v[23:24], v1, s[8:11], s6 offen
	v_add_lshl_u32 v0, v53, v0, 3
	v_sub_u32_e32 v1, v65, v28
	v_cndmask_b32_e32 v0, -1, v0, vcc
	v_add_u32_e32 v1, v1, v65
	buffer_store_dwordx2 v[26:27], v0, s[8:11], s6 offen
	v_add_u32_e32 v0, 0x78, v1
	v_mul_lo_u32 v2, s12, v1
	v_mul_lo_u32 v0, s12, v0
	v_add_lshl_u32 v1, v53, v2, 3
	v_add_lshl_u32 v0, v53, v0, 3
	v_cndmask_b32_e32 v1, -1, v1, vcc
	v_cndmask_b32_e32 v0, -1, v0, vcc
	buffer_store_dwordx2 v[4:5], v1, s[8:11], s6 offen
	buffer_store_dwordx2 v[29:30], v0, s[8:11], s6 offen
	s_endpgm
	.section	.rodata,"a",@progbits
	.p2align	6, 0x0
	.amdhsa_kernel fft_rtc_fwd_len240_factors_2_2_10_3_2_wgs_180_tpt_20_dim3_sp_ip_CI_sbcc_twdbase8_2step_dirReg_intrinsicReadWrite
		.amdhsa_group_segment_fixed_size 0
		.amdhsa_private_segment_fixed_size 0
		.amdhsa_kernarg_size 88
		.amdhsa_user_sgpr_count 6
		.amdhsa_user_sgpr_private_segment_buffer 1
		.amdhsa_user_sgpr_dispatch_ptr 0
		.amdhsa_user_sgpr_queue_ptr 0
		.amdhsa_user_sgpr_kernarg_segment_ptr 1
		.amdhsa_user_sgpr_dispatch_id 0
		.amdhsa_user_sgpr_flat_scratch_init 0
		.amdhsa_user_sgpr_private_segment_size 0
		.amdhsa_uses_dynamic_stack 0
		.amdhsa_system_sgpr_private_segment_wavefront_offset 0
		.amdhsa_system_sgpr_workgroup_id_x 1
		.amdhsa_system_sgpr_workgroup_id_y 0
		.amdhsa_system_sgpr_workgroup_id_z 0
		.amdhsa_system_sgpr_workgroup_info 0
		.amdhsa_system_vgpr_workitem_id 0
		.amdhsa_next_free_vgpr 96
		.amdhsa_next_free_sgpr 28
		.amdhsa_reserve_vcc 1
		.amdhsa_reserve_flat_scratch 0
		.amdhsa_float_round_mode_32 0
		.amdhsa_float_round_mode_16_64 0
		.amdhsa_float_denorm_mode_32 3
		.amdhsa_float_denorm_mode_16_64 3
		.amdhsa_dx10_clamp 1
		.amdhsa_ieee_mode 1
		.amdhsa_fp16_overflow 0
		.amdhsa_exception_fp_ieee_invalid_op 0
		.amdhsa_exception_fp_denorm_src 0
		.amdhsa_exception_fp_ieee_div_zero 0
		.amdhsa_exception_fp_ieee_overflow 0
		.amdhsa_exception_fp_ieee_underflow 0
		.amdhsa_exception_fp_ieee_inexact 0
		.amdhsa_exception_int_div_zero 0
	.end_amdhsa_kernel
	.text
.Lfunc_end0:
	.size	fft_rtc_fwd_len240_factors_2_2_10_3_2_wgs_180_tpt_20_dim3_sp_ip_CI_sbcc_twdbase8_2step_dirReg_intrinsicReadWrite, .Lfunc_end0-fft_rtc_fwd_len240_factors_2_2_10_3_2_wgs_180_tpt_20_dim3_sp_ip_CI_sbcc_twdbase8_2step_dirReg_intrinsicReadWrite
                                        ; -- End function
	.section	.AMDGPU.csdata,"",@progbits
; Kernel info:
; codeLenInByte = 8012
; NumSgprs: 32
; NumVgprs: 96
; ScratchSize: 0
; MemoryBound: 0
; FloatMode: 240
; IeeeMode: 1
; LDSByteSize: 0 bytes/workgroup (compile time only)
; SGPRBlocks: 3
; VGPRBlocks: 23
; NumSGPRsForWavesPerEU: 32
; NumVGPRsForWavesPerEU: 96
; Occupancy: 2
; WaveLimiterHint : 0
; COMPUTE_PGM_RSRC2:SCRATCH_EN: 0
; COMPUTE_PGM_RSRC2:USER_SGPR: 6
; COMPUTE_PGM_RSRC2:TRAP_HANDLER: 0
; COMPUTE_PGM_RSRC2:TGID_X_EN: 1
; COMPUTE_PGM_RSRC2:TGID_Y_EN: 0
; COMPUTE_PGM_RSRC2:TGID_Z_EN: 0
; COMPUTE_PGM_RSRC2:TIDIG_COMP_CNT: 0
	.type	__hip_cuid_66ac32ab1acb3dff,@object ; @__hip_cuid_66ac32ab1acb3dff
	.section	.bss,"aw",@nobits
	.globl	__hip_cuid_66ac32ab1acb3dff
__hip_cuid_66ac32ab1acb3dff:
	.byte	0                               ; 0x0
	.size	__hip_cuid_66ac32ab1acb3dff, 1

	.ident	"AMD clang version 19.0.0git (https://github.com/RadeonOpenCompute/llvm-project roc-6.4.0 25133 c7fe45cf4b819c5991fe208aaa96edf142730f1d)"
	.section	".note.GNU-stack","",@progbits
	.addrsig
	.addrsig_sym __hip_cuid_66ac32ab1acb3dff
	.amdgpu_metadata
---
amdhsa.kernels:
  - .args:
      - .actual_access:  read_only
        .address_space:  global
        .offset:         0
        .size:           8
        .value_kind:     global_buffer
      - .address_space:  global
        .offset:         8
        .size:           8
        .value_kind:     global_buffer
      - .actual_access:  read_only
        .address_space:  global
        .offset:         16
        .size:           8
        .value_kind:     global_buffer
      - .actual_access:  read_only
        .address_space:  global
        .offset:         24
        .size:           8
        .value_kind:     global_buffer
      - .offset:         32
        .size:           8
        .value_kind:     by_value
      - .actual_access:  read_only
        .address_space:  global
        .offset:         40
        .size:           8
        .value_kind:     global_buffer
      - .actual_access:  read_only
        .address_space:  global
        .offset:         48
        .size:           8
        .value_kind:     global_buffer
      - .offset:         56
        .size:           4
        .value_kind:     by_value
      - .actual_access:  read_only
        .address_space:  global
        .offset:         64
        .size:           8
        .value_kind:     global_buffer
      - .actual_access:  read_only
        .address_space:  global
        .offset:         72
        .size:           8
        .value_kind:     global_buffer
      - .address_space:  global
        .offset:         80
        .size:           8
        .value_kind:     global_buffer
    .group_segment_fixed_size: 0
    .kernarg_segment_align: 8
    .kernarg_segment_size: 88
    .language:       OpenCL C
    .language_version:
      - 2
      - 0
    .max_flat_workgroup_size: 180
    .name:           fft_rtc_fwd_len240_factors_2_2_10_3_2_wgs_180_tpt_20_dim3_sp_ip_CI_sbcc_twdbase8_2step_dirReg_intrinsicReadWrite
    .private_segment_fixed_size: 0
    .sgpr_count:     32
    .sgpr_spill_count: 0
    .symbol:         fft_rtc_fwd_len240_factors_2_2_10_3_2_wgs_180_tpt_20_dim3_sp_ip_CI_sbcc_twdbase8_2step_dirReg_intrinsicReadWrite.kd
    .uniform_work_group_size: 1
    .uses_dynamic_stack: false
    .vgpr_count:     96
    .vgpr_spill_count: 0
    .wavefront_size: 64
amdhsa.target:   amdgcn-amd-amdhsa--gfx906
amdhsa.version:
  - 1
  - 2
...

	.end_amdgpu_metadata
